;; amdgpu-corpus repo=ROCm/rocFFT kind=compiled arch=gfx906 opt=O3
	.text
	.amdgcn_target "amdgcn-amd-amdhsa--gfx906"
	.amdhsa_code_object_version 6
	.protected	fft_rtc_back_len432_factors_3_16_3_3_wgs_54_tpt_27_halfLds_dp_op_CI_CI_unitstride_sbrr_dirReg ; -- Begin function fft_rtc_back_len432_factors_3_16_3_3_wgs_54_tpt_27_halfLds_dp_op_CI_CI_unitstride_sbrr_dirReg
	.globl	fft_rtc_back_len432_factors_3_16_3_3_wgs_54_tpt_27_halfLds_dp_op_CI_CI_unitstride_sbrr_dirReg
	.p2align	8
	.type	fft_rtc_back_len432_factors_3_16_3_3_wgs_54_tpt_27_halfLds_dp_op_CI_CI_unitstride_sbrr_dirReg,@function
fft_rtc_back_len432_factors_3_16_3_3_wgs_54_tpt_27_halfLds_dp_op_CI_CI_unitstride_sbrr_dirReg: ; @fft_rtc_back_len432_factors_3_16_3_3_wgs_54_tpt_27_halfLds_dp_op_CI_CI_unitstride_sbrr_dirReg
; %bb.0:
	s_load_dwordx4 s[12:15], s[4:5], 0x58
	s_load_dwordx4 s[8:11], s[4:5], 0x0
	;; [unrolled: 1-line block ×3, first 2 shown]
	v_mul_u32_u24_e32 v1, 0x97c, v0
	v_lshrrev_b32_e32 v74, 16, v1
	v_mov_b32_e32 v1, 0
	s_waitcnt lgkmcnt(0)
	v_cmp_lt_u64_e64 s[0:1], s[10:11], 2
	v_mov_b32_e32 v4, 0
	v_lshl_add_u32 v6, s6, 1, v74
	v_mov_b32_e32 v7, v1
	s_and_b64 vcc, exec, s[0:1]
	v_mov_b32_e32 v5, 0
	s_cbranch_vccnz .LBB0_8
; %bb.1:
	s_load_dwordx2 s[0:1], s[4:5], 0x10
	s_add_u32 s2, s18, 8
	s_addc_u32 s3, s19, 0
	s_add_u32 s6, s16, 8
	v_mov_b32_e32 v4, 0
	s_addc_u32 s7, s17, 0
	v_mov_b32_e32 v5, 0
	s_waitcnt lgkmcnt(0)
	s_add_u32 s20, s0, 8
	v_mov_b32_e32 v81, v5
	s_addc_u32 s21, s1, 0
	s_mov_b64 s[22:23], 1
	v_mov_b32_e32 v80, v4
.LBB0_2:                                ; =>This Inner Loop Header: Depth=1
	s_load_dwordx2 s[24:25], s[20:21], 0x0
                                        ; implicit-def: $vgpr82_vgpr83
	s_waitcnt lgkmcnt(0)
	v_or_b32_e32 v2, s25, v7
	v_cmp_ne_u64_e32 vcc, 0, v[1:2]
	s_and_saveexec_b64 s[0:1], vcc
	s_xor_b64 s[26:27], exec, s[0:1]
	s_cbranch_execz .LBB0_4
; %bb.3:                                ;   in Loop: Header=BB0_2 Depth=1
	v_cvt_f32_u32_e32 v2, s24
	v_cvt_f32_u32_e32 v3, s25
	s_sub_u32 s0, 0, s24
	s_subb_u32 s1, 0, s25
	v_mac_f32_e32 v2, 0x4f800000, v3
	v_rcp_f32_e32 v2, v2
	v_mul_f32_e32 v2, 0x5f7ffffc, v2
	v_mul_f32_e32 v3, 0x2f800000, v2
	v_trunc_f32_e32 v3, v3
	v_mac_f32_e32 v2, 0xcf800000, v3
	v_cvt_u32_f32_e32 v3, v3
	v_cvt_u32_f32_e32 v2, v2
	v_mul_lo_u32 v8, s0, v3
	v_mul_hi_u32 v9, s0, v2
	v_mul_lo_u32 v11, s1, v2
	v_mul_lo_u32 v10, s0, v2
	v_add_u32_e32 v8, v9, v8
	v_add_u32_e32 v8, v8, v11
	v_mul_hi_u32 v9, v2, v10
	v_mul_lo_u32 v11, v2, v8
	v_mul_hi_u32 v13, v2, v8
	v_mul_hi_u32 v12, v3, v10
	v_mul_lo_u32 v10, v3, v10
	v_mul_hi_u32 v14, v3, v8
	v_add_co_u32_e32 v9, vcc, v9, v11
	v_addc_co_u32_e32 v11, vcc, 0, v13, vcc
	v_mul_lo_u32 v8, v3, v8
	v_add_co_u32_e32 v9, vcc, v9, v10
	v_addc_co_u32_e32 v9, vcc, v11, v12, vcc
	v_addc_co_u32_e32 v10, vcc, 0, v14, vcc
	v_add_co_u32_e32 v8, vcc, v9, v8
	v_addc_co_u32_e32 v9, vcc, 0, v10, vcc
	v_add_co_u32_e32 v2, vcc, v2, v8
	v_addc_co_u32_e32 v3, vcc, v3, v9, vcc
	v_mul_lo_u32 v8, s0, v3
	v_mul_hi_u32 v9, s0, v2
	v_mul_lo_u32 v10, s1, v2
	v_mul_lo_u32 v11, s0, v2
	v_add_u32_e32 v8, v9, v8
	v_add_u32_e32 v8, v8, v10
	v_mul_lo_u32 v12, v2, v8
	v_mul_hi_u32 v13, v2, v11
	v_mul_hi_u32 v14, v2, v8
	;; [unrolled: 1-line block ×3, first 2 shown]
	v_mul_lo_u32 v11, v3, v11
	v_mul_hi_u32 v9, v3, v8
	v_add_co_u32_e32 v12, vcc, v13, v12
	v_addc_co_u32_e32 v13, vcc, 0, v14, vcc
	v_mul_lo_u32 v8, v3, v8
	v_add_co_u32_e32 v11, vcc, v12, v11
	v_addc_co_u32_e32 v10, vcc, v13, v10, vcc
	v_addc_co_u32_e32 v9, vcc, 0, v9, vcc
	v_add_co_u32_e32 v8, vcc, v10, v8
	v_addc_co_u32_e32 v9, vcc, 0, v9, vcc
	v_add_co_u32_e32 v8, vcc, v2, v8
	v_addc_co_u32_e32 v9, vcc, v3, v9, vcc
	v_mad_u64_u32 v[2:3], s[0:1], v6, v9, 0
	v_mul_hi_u32 v10, v6, v8
	v_add_co_u32_e32 v10, vcc, v10, v2
	v_addc_co_u32_e32 v11, vcc, 0, v3, vcc
	v_mad_u64_u32 v[2:3], s[0:1], v7, v8, 0
	v_mad_u64_u32 v[8:9], s[0:1], v7, v9, 0
	v_add_co_u32_e32 v2, vcc, v10, v2
	v_addc_co_u32_e32 v2, vcc, v11, v3, vcc
	v_addc_co_u32_e32 v3, vcc, 0, v9, vcc
	v_add_co_u32_e32 v8, vcc, v2, v8
	v_addc_co_u32_e32 v9, vcc, 0, v3, vcc
	v_mul_lo_u32 v10, s25, v8
	v_mul_lo_u32 v11, s24, v9
	v_mad_u64_u32 v[2:3], s[0:1], s24, v8, 0
	v_add3_u32 v3, v3, v11, v10
	v_sub_u32_e32 v10, v7, v3
	v_mov_b32_e32 v11, s25
	v_sub_co_u32_e32 v2, vcc, v6, v2
	v_subb_co_u32_e64 v10, s[0:1], v10, v11, vcc
	v_subrev_co_u32_e64 v11, s[0:1], s24, v2
	v_subbrev_co_u32_e64 v10, s[0:1], 0, v10, s[0:1]
	v_cmp_le_u32_e64 s[0:1], s25, v10
	v_cndmask_b32_e64 v12, 0, -1, s[0:1]
	v_cmp_le_u32_e64 s[0:1], s24, v11
	v_cndmask_b32_e64 v11, 0, -1, s[0:1]
	v_cmp_eq_u32_e64 s[0:1], s25, v10
	v_cndmask_b32_e64 v10, v12, v11, s[0:1]
	v_add_co_u32_e64 v11, s[0:1], 2, v8
	v_addc_co_u32_e64 v12, s[0:1], 0, v9, s[0:1]
	v_add_co_u32_e64 v13, s[0:1], 1, v8
	v_addc_co_u32_e64 v14, s[0:1], 0, v9, s[0:1]
	v_subb_co_u32_e32 v3, vcc, v7, v3, vcc
	v_cmp_ne_u32_e64 s[0:1], 0, v10
	v_cmp_le_u32_e32 vcc, s25, v3
	v_cndmask_b32_e64 v10, v14, v12, s[0:1]
	v_cndmask_b32_e64 v12, 0, -1, vcc
	v_cmp_le_u32_e32 vcc, s24, v2
	v_cndmask_b32_e64 v2, 0, -1, vcc
	v_cmp_eq_u32_e32 vcc, s25, v3
	v_cndmask_b32_e32 v2, v12, v2, vcc
	v_cmp_ne_u32_e32 vcc, 0, v2
	v_cndmask_b32_e64 v2, v13, v11, s[0:1]
	v_cndmask_b32_e32 v83, v9, v10, vcc
	v_cndmask_b32_e32 v82, v8, v2, vcc
.LBB0_4:                                ;   in Loop: Header=BB0_2 Depth=1
	s_andn2_saveexec_b64 s[0:1], s[26:27]
	s_cbranch_execz .LBB0_6
; %bb.5:                                ;   in Loop: Header=BB0_2 Depth=1
	v_cvt_f32_u32_e32 v2, s24
	s_sub_i32 s26, 0, s24
	v_mov_b32_e32 v83, v1
	v_rcp_iflag_f32_e32 v2, v2
	v_mul_f32_e32 v2, 0x4f7ffffe, v2
	v_cvt_u32_f32_e32 v2, v2
	v_mul_lo_u32 v3, s26, v2
	v_mul_hi_u32 v3, v2, v3
	v_add_u32_e32 v2, v2, v3
	v_mul_hi_u32 v2, v6, v2
	v_mul_lo_u32 v3, v2, s24
	v_add_u32_e32 v8, 1, v2
	v_sub_u32_e32 v3, v6, v3
	v_subrev_u32_e32 v9, s24, v3
	v_cmp_le_u32_e32 vcc, s24, v3
	v_cndmask_b32_e32 v3, v3, v9, vcc
	v_cndmask_b32_e32 v2, v2, v8, vcc
	v_add_u32_e32 v8, 1, v2
	v_cmp_le_u32_e32 vcc, s24, v3
	v_cndmask_b32_e32 v82, v2, v8, vcc
.LBB0_6:                                ;   in Loop: Header=BB0_2 Depth=1
	s_or_b64 exec, exec, s[0:1]
	v_mul_lo_u32 v8, v83, s24
	v_mul_lo_u32 v9, v82, s25
	v_mad_u64_u32 v[2:3], s[0:1], v82, s24, 0
	s_load_dwordx2 s[0:1], s[6:7], 0x0
	s_load_dwordx2 s[24:25], s[2:3], 0x0
	v_add3_u32 v3, v3, v9, v8
	v_sub_co_u32_e32 v2, vcc, v6, v2
	v_subb_co_u32_e32 v3, vcc, v7, v3, vcc
	s_waitcnt lgkmcnt(0)
	v_mul_lo_u32 v6, s0, v3
	v_mul_lo_u32 v7, s1, v2
	v_mad_u64_u32 v[4:5], s[0:1], s0, v2, v[4:5]
	v_mul_lo_u32 v3, s24, v3
	v_mul_lo_u32 v8, s25, v2
	v_mad_u64_u32 v[80:81], s[0:1], s24, v2, v[80:81]
	s_add_u32 s22, s22, 1
	s_addc_u32 s23, s23, 0
	s_add_u32 s2, s2, 8
	v_add3_u32 v81, v8, v81, v3
	s_addc_u32 s3, s3, 0
	v_mov_b32_e32 v2, s10
	s_add_u32 s6, s6, 8
	v_mov_b32_e32 v3, s11
	s_addc_u32 s7, s7, 0
	v_cmp_ge_u64_e32 vcc, s[22:23], v[2:3]
	s_add_u32 s20, s20, 8
	v_add3_u32 v5, v7, v5, v6
	s_addc_u32 s21, s21, 0
	s_cbranch_vccnz .LBB0_9
; %bb.7:                                ;   in Loop: Header=BB0_2 Depth=1
	v_mov_b32_e32 v6, v82
	v_mov_b32_e32 v7, v83
	s_branch .LBB0_2
.LBB0_8:
	v_mov_b32_e32 v81, v5
	v_mov_b32_e32 v83, v7
	;; [unrolled: 1-line block ×4, first 2 shown]
.LBB0_9:
	s_load_dwordx2 s[2:3], s[4:5], 0x28
	s_lshl_b64 s[6:7], s[10:11], 3
	s_add_u32 s4, s18, s6
	s_addc_u32 s5, s19, s7
                                        ; implicit-def: $vgpr108
	s_waitcnt lgkmcnt(0)
	v_cmp_gt_u64_e64 s[0:1], s[2:3], v[82:83]
	v_cmp_le_u64_e32 vcc, s[2:3], v[82:83]
	s_and_saveexec_b64 s[2:3], vcc
	s_xor_b64 s[2:3], exec, s[2:3]
; %bb.10:
	s_mov_b32 s10, 0x97b425f
	v_mul_hi_u32 v1, v0, s10
                                        ; implicit-def: $vgpr4_vgpr5
	v_mul_u32_u24_e32 v1, 27, v1
	v_sub_u32_e32 v108, v0, v1
                                        ; implicit-def: $vgpr0
; %bb.11:
	s_or_saveexec_b64 s[2:3], s[2:3]
	s_load_dwordx2 s[4:5], s[4:5], 0x0
                                        ; implicit-def: $vgpr72_vgpr73
                                        ; implicit-def: $vgpr2_vgpr3
                                        ; implicit-def: $vgpr16_vgpr17
                                        ; implicit-def: $vgpr48_vgpr49
                                        ; implicit-def: $vgpr20_vgpr21
                                        ; implicit-def: $vgpr44_vgpr45
                                        ; implicit-def: $vgpr32_vgpr33
                                        ; implicit-def: $vgpr56_vgpr57
                                        ; implicit-def: $vgpr24_vgpr25
                                        ; implicit-def: $vgpr52_vgpr53
                                        ; implicit-def: $vgpr60_vgpr61
                                        ; implicit-def: $vgpr40_vgpr41
                                        ; implicit-def: $vgpr28_vgpr29
                                        ; implicit-def: $vgpr12_vgpr13
                                        ; implicit-def: $vgpr8_vgpr9
                                        ; implicit-def: $vgpr64_vgpr65
                                        ; implicit-def: $vgpr68_vgpr69
                                        ; implicit-def: $vgpr36_vgpr37
	s_xor_b64 exec, exec, s[2:3]
	s_cbranch_execz .LBB0_15
; %bb.12:
	s_add_u32 s6, s16, s6
	s_addc_u32 s7, s17, s7
	s_load_dwordx2 s[6:7], s[6:7], 0x0
	s_mov_b32 s10, 0x97b425f
	v_mul_hi_u32 v3, v0, s10
                                        ; implicit-def: $vgpr10_vgpr11
                                        ; implicit-def: $vgpr26_vgpr27
	s_waitcnt lgkmcnt(0)
	v_mul_lo_u32 v6, s7, v82
	v_mul_lo_u32 v7, s6, v83
	v_mad_u64_u32 v[1:2], s[6:7], s6, v82, 0
	v_mul_u32_u24_e32 v3, 27, v3
	v_sub_u32_e32 v108, v0, v3
	v_add3_u32 v2, v2, v7, v6
	v_lshlrev_b64 v[0:1], 4, v[1:2]
	v_mov_b32_e32 v2, s13
	v_add_co_u32_e32 v3, vcc, s12, v0
	v_addc_co_u32_e32 v2, vcc, v2, v1, vcc
	v_lshlrev_b64 v[0:1], 4, v[4:5]
	s_movk_i32 s6, 0x1000
	v_add_co_u32_e32 v0, vcc, v3, v0
	v_addc_co_u32_e32 v1, vcc, v2, v1, vcc
	v_lshlrev_b32_e32 v2, 4, v108
	v_add_co_u32_e32 v4, vcc, v0, v2
	v_addc_co_u32_e32 v5, vcc, 0, v1, vcc
	v_or_b32_e32 v2, 0x1200, v2
	v_add_co_u32_e32 v6, vcc, v0, v2
	v_addc_co_u32_e32 v7, vcc, 0, v1, vcc
	v_add_co_u32_e32 v8, vcc, s6, v4
	global_load_dwordx4 v[34:37], v[4:5], off
	global_load_dwordx4 v[14:17], v[4:5], off offset:432
	v_addc_co_u32_e32 v9, vcc, 0, v5, vcc
	global_load_dwordx4 v[0:3], v[6:7], off
	global_load_dwordx4 v[18:21], v[8:9], off offset:944
	global_load_dwordx4 v[46:49], v[4:5], off offset:2736
	global_load_dwordx4 v[42:45], v[4:5], off offset:3168
	global_load_dwordx4 v[30:33], v[8:9], off offset:1376
	global_load_dwordx4 v[22:25], v[8:9], off offset:1808
	global_load_dwordx4 v[38:41], v[8:9], off offset:2240
	global_load_dwordx4 v[66:69], v[4:5], off offset:864
	global_load_dwordx4 v[62:65], v[4:5], off offset:1296
	global_load_dwordx4 v[70:73], v[4:5], off offset:2304
	global_load_dwordx4 v[50:53], v[4:5], off offset:1728
	global_load_dwordx4 v[54:57], v[4:5], off offset:3600
	global_load_dwordx4 v[58:61], v[4:5], off offset:4032
	v_cmp_gt_u32_e32 vcc, 9, v108
                                        ; implicit-def: $vgpr6_vgpr7
	s_and_saveexec_b64 s[6:7], vcc
	s_cbranch_execz .LBB0_14
; %bb.13:
	v_add_co_u32_e32 v75, vcc, 0x1000, v4
	v_addc_co_u32_e32 v76, vcc, 0, v5, vcc
	global_load_dwordx4 v[6:9], v[4:5], off offset:2160
	global_load_dwordx4 v[10:13], v[75:76], off offset:368
	;; [unrolled: 1-line block ×3, first 2 shown]
.LBB0_14:
	s_or_b64 exec, exec, s[6:7]
.LBB0_15:
	s_or_b64 exec, exec, s[2:3]
	s_waitcnt vmcnt(3)
	v_add_f64 v[4:5], v[70:71], v[0:1]
	v_and_b32_e32 v92, 1, v74
	v_add_f64 v[74:75], v[70:71], v[34:35]
	v_add_f64 v[76:77], v[72:73], -v[2:3]
	v_add_f64 v[78:79], v[46:47], v[18:19]
	s_mov_b32 s2, 0xe8584caa
	s_mov_b32 s3, 0xbfebb67a
	v_add_f64 v[84:85], v[14:15], v[46:47]
	v_fma_f64 v[34:35], v[4:5], -0.5, v[34:35]
	v_add_f64 v[86:87], v[48:49], -v[20:21]
	v_add_f64 v[74:75], v[0:1], v[74:75]
	v_mov_b32_e32 v93, 0x1b0
	v_fma_f64 v[78:79], v[78:79], -0.5, v[14:15]
	v_cmp_eq_u32_e32 vcc, 1, v92
	v_cndmask_b32_e32 v4, 0, v93, vcc
	v_mad_u32_u24 v5, v108, 24, 0
	v_fma_f64 v[90:91], v[76:77], s[2:3], v[34:35]
	v_lshlrev_b32_e32 v110, 3, v4
	s_mov_b32 s7, 0x3febb67a
	v_add_f64 v[88:89], v[42:43], v[30:31]
	s_mov_b32 s6, s2
	v_add_u32_e32 v14, v5, v110
	v_add_f64 v[84:85], v[84:85], v[18:19]
	v_fma_f64 v[92:93], v[86:87], s[2:3], v[78:79]
	ds_write2_b64 v14, v[74:75], v[90:91] offset1:1
	v_fma_f64 v[34:35], v[76:77], s[6:7], v[34:35]
	s_waitcnt vmcnt(1)
	v_add_f64 v[74:75], v[54:55], v[22:23]
	v_fma_f64 v[76:77], v[86:87], s[6:7], v[78:79]
	v_add_f64 v[78:79], v[42:43], v[66:67]
	v_fma_f64 v[66:67], v[88:89], -0.5, v[66:67]
	v_add_f64 v[86:87], v[44:45], -v[32:33]
	s_waitcnt vmcnt(0)
	v_add_f64 v[88:89], v[58:59], v[38:39]
	ds_write2_b64 v14, v[84:85], v[92:93] offset0:81 offset1:82
	v_add_f64 v[84:85], v[54:55], v[62:63]
	v_fma_f64 v[62:63], v[74:75], -0.5, v[62:63]
	v_add_f64 v[74:75], v[56:57], -v[24:25]
	ds_write2_b64 v14, v[34:35], v[76:77] offset0:2 offset1:83
	v_add_f64 v[34:35], v[30:31], v[78:79]
	v_add_f64 v[78:79], v[26:27], v[10:11]
	v_fma_f64 v[76:77], v[86:87], s[2:3], v[66:67]
	v_fma_f64 v[88:89], v[88:89], -0.5, v[50:51]
	v_add_f64 v[90:91], v[60:61], -v[40:41]
	v_add_f64 v[50:51], v[50:51], v[58:59]
	v_fma_f64 v[92:93], v[74:75], s[2:3], v[62:63]
	v_fma_f64 v[62:63], v[74:75], s[6:7], v[62:63]
	v_add_f64 v[84:85], v[22:23], v[84:85]
	v_fma_f64 v[74:75], v[78:79], -0.5, v[6:7]
	v_add_f64 v[78:79], v[12:13], -v[28:29]
	v_fma_f64 v[66:67], v[86:87], s[6:7], v[66:67]
	ds_write2_b64 v14, v[34:35], v[76:77] offset0:162 offset1:163
	v_fma_f64 v[34:35], v[90:91], s[2:3], v[88:89]
	v_fma_f64 v[86:87], v[90:91], s[6:7], v[88:89]
	v_add_f64 v[50:51], v[50:51], v[38:39]
	v_add_u32_e32 v5, 0xa20, v5
	v_add_u32_e32 v15, v5, v110
	v_fma_f64 v[76:77], v[78:79], s[2:3], v[74:75]
	v_fma_f64 v[74:75], v[78:79], s[6:7], v[74:75]
	ds_write2_b64 v14, v[84:85], v[92:93] offset0:243 offset1:244
	ds_write2_b64 v14, v[66:67], v[62:63] offset0:164 offset1:245
	;; [unrolled: 1-line block ×3, first 2 shown]
	ds_write_b64 v15, v[50:51]
	v_cmp_gt_u32_e32 vcc, 9, v108
	v_add_u32_e32 v62, 0x288, v14
	v_add_u32_e32 v51, 0x510, v14
	;; [unrolled: 1-line block ×3, first 2 shown]
	s_and_saveexec_b64 s[10:11], vcc
	s_cbranch_execz .LBB0_17
; %bb.16:
	v_add_f64 v[6:7], v[10:11], v[6:7]
	v_lshl_add_u32 v4, v4, 3, v5
	v_add_f64 v[6:7], v[26:27], v[6:7]
	ds_write_b64 v4, v[6:7] offset:648
	ds_write2_b64 v4, v[76:77], v[74:75] offset0:82 offset1:83
.LBB0_17:
	s_or_b64 exec, exec, s[10:11]
	v_add_f64 v[4:5], v[72:73], v[2:3]
	v_add_f64 v[6:7], v[48:49], v[20:21]
	v_add_f64 v[0:1], v[70:71], -v[0:1]
	v_add_f64 v[18:19], v[46:47], -v[18:19]
	v_add_f64 v[34:35], v[72:73], v[36:37]
	v_add_f64 v[46:47], v[44:45], v[32:33]
	;; [unrolled: 1-line block ×3, first 2 shown]
	v_add_f64 v[10:11], v[10:11], -v[26:27]
	v_fma_f64 v[4:5], v[4:5], -0.5, v[36:37]
	v_fma_f64 v[6:7], v[6:7], -0.5, v[16:17]
	v_add_f64 v[36:37], v[44:45], v[68:69]
	v_add_f64 v[16:17], v[42:43], -v[30:31]
	v_add_f64 v[30:31], v[56:57], v[24:25]
	v_add_f64 v[44:45], v[2:3], v[34:35]
	v_fma_f64 v[2:3], v[46:47], -0.5, v[68:69]
	v_add_f64 v[48:49], v[48:49], v[20:21]
	v_fma_f64 v[66:67], v[0:1], s[6:7], v[4:5]
	v_fma_f64 v[0:1], v[0:1], s[2:3], v[4:5]
	v_add_f64 v[4:5], v[60:61], v[40:41]
	v_fma_f64 v[70:71], v[18:19], s[6:7], v[6:7]
	v_fma_f64 v[72:73], v[18:19], s[2:3], v[6:7]
	v_add_f64 v[6:7], v[28:29], v[12:13]
	v_add_f64 v[78:79], v[32:33], v[36:37]
	v_add_f64 v[32:33], v[58:59], -v[38:39]
	v_add_f64 v[18:19], v[56:57], v[64:65]
	v_fma_f64 v[20:21], v[30:31], -0.5, v[64:65]
	v_fma_f64 v[4:5], v[4:5], -0.5, v[52:53]
	v_add_f64 v[22:23], v[54:55], -v[22:23]
	v_add_f64 v[30:31], v[52:53], v[60:61]
	v_fma_f64 v[6:7], v[6:7], -0.5, v[8:9]
	v_fma_f64 v[84:85], v[16:17], s[6:7], v[2:3]
	v_fma_f64 v[52:53], v[16:17], s[2:3], v[2:3]
	v_add_f64 v[54:55], v[24:25], v[18:19]
	s_waitcnt lgkmcnt(0)
	v_fma_f64 v[63:64], v[32:33], s[6:7], v[4:5]
	v_fma_f64 v[86:87], v[32:33], s[2:3], v[4:5]
	v_lshlrev_b32_e32 v4, 3, v108
	v_add3_u32 v112, 0, v110, v4
	v_add_u32_e32 v4, 0, v4
	v_add_u32_e32 v111, v4, v110
	v_fma_f64 v[2:3], v[10:11], s[6:7], v[6:7]
	v_fma_f64 v[68:69], v[10:11], s[2:3], v[6:7]
	v_add_u32_e32 v107, 0x400, v111
	v_add_u32_e32 v106, 0x800, v111
	v_fma_f64 v[56:57], v[22:23], s[6:7], v[20:21]
	v_fma_f64 v[58:59], v[22:23], s[2:3], v[20:21]
	v_add_f64 v[60:61], v[30:31], v[40:41]
	; wave barrier
	ds_read2_b64 v[38:41], v111 offset0:27 offset1:54
	ds_read2_b64 v[34:37], v111 offset0:81 offset1:108
	;; [unrolled: 1-line block ×7, first 2 shown]
	ds_read_b64 v[42:43], v112
	ds_read_b64 v[46:47], v111 offset:3240
	v_add_u32_e32 v109, 0x87, v108
	s_waitcnt lgkmcnt(0)
	; wave barrier
	s_waitcnt lgkmcnt(0)
	ds_write2_b64 v14, v[44:45], v[66:67] offset1:1
	ds_write_b64 v14, v[0:1] offset:16
	ds_write2_b64 v62, v[48:49], v[70:71] offset1:1
	ds_write_b64 v62, v[72:73] offset:16
	ds_write2_b64 v51, v[78:79], v[84:85] offset1:1
	ds_write_b64 v51, v[52:53] offset:16
	ds_write2_b64 v50, v[54:55], v[56:57] offset1:1
	ds_write_b64 v50, v[58:59] offset:16
	ds_write_b64 v15, v[60:61]
	ds_write2_b64 v15, v[63:64], v[86:87] offset0:1 offset1:2
	s_and_saveexec_b64 s[2:3], vcc
	s_cbranch_execz .LBB0_19
; %bb.18:
	v_add_f64 v[0:1], v[12:13], v[8:9]
	v_mul_u32_u24_e32 v8, 24, v109
	v_add3_u32 v8, 0, v8, v110
	v_add_f64 v[0:1], v[28:29], v[0:1]
	ds_write2_b64 v8, v[0:1], v[2:3] offset1:1
	ds_write_b64 v8, v[68:69] offset:16
.LBB0_19:
	s_or_b64 exec, exec, s[2:3]
	s_movk_i32 s2, 0xab
	v_mul_lo_u16_sdwa v28, v108, s2 dst_sel:DWORD dst_unused:UNUSED_PAD src0_sel:BYTE_0 src1_sel:DWORD
	v_lshrrev_b16_e32 v28, 9, v28
	v_mul_lo_u16_e32 v29, 3, v28
	v_sub_u16_e32 v29, v108, v29
	v_mov_b32_e32 v44, 15
	v_mul_u32_u24_sdwa v44, v29, v44 dst_sel:DWORD dst_unused:UNUSED_PAD src0_sel:BYTE_0 src1_sel:DWORD
	v_lshlrev_b32_e32 v102, 4, v44
	s_waitcnt lgkmcnt(0)
	; wave barrier
	s_waitcnt lgkmcnt(0)
	ds_read_b64 v[0:1], v112
	ds_read2_b64 v[12:15], v111 offset0:27 offset1:54
	ds_read2_b64 v[48:51], v111 offset0:81 offset1:108
	;; [unrolled: 1-line block ×7, first 2 shown]
	ds_read_b64 v[78:79], v111 offset:3240
	global_load_dwordx4 v[70:73], v102, s[8:9] offset:48
	global_load_dwordx4 v[84:87], v102, s[8:9] offset:32
	;; [unrolled: 1-line block ×3, first 2 shown]
	global_load_dwordx4 v[92:95], v102, s[8:9]
	s_mov_b32 s10, 0x667f3bcd
	s_mov_b32 s11, 0x3fe6a09e
	;; [unrolled: 1-line block ×10, first 2 shown]
	v_mul_u32_u24_e32 v28, 48, v28
	v_or_b32_sdwa v28, v28, v29 dst_sel:DWORD dst_unused:UNUSED_PAD src0_sel:DWORD src1_sel:BYTE_0
	v_lshlrev_b32_e32 v28, 3, v28
	v_add3_u32 v113, 0, v28, v110
	s_waitcnt vmcnt(0) lgkmcnt(7)
	v_mul_f64 v[44:45], v[12:13], v[94:95]
	v_fma_f64 v[96:97], v[38:39], v[92:93], v[44:45]
	v_mul_f64 v[38:39], v[38:39], v[94:95]
	v_fma_f64 v[92:93], v[12:13], v[92:93], -v[38:39]
	v_mul_f64 v[12:13], v[14:15], v[90:91]
	v_fma_f64 v[94:95], v[40:41], v[88:89], v[12:13]
	v_mul_f64 v[12:13], v[40:41], v[90:91]
	v_fma_f64 v[88:89], v[14:15], v[88:89], -v[12:13]
	s_waitcnt lgkmcnt(6)
	v_mul_f64 v[12:13], v[48:49], v[86:87]
	v_fma_f64 v[90:91], v[34:35], v[84:85], v[12:13]
	v_mul_f64 v[12:13], v[34:35], v[86:87]
	v_fma_f64 v[84:85], v[48:49], v[84:85], -v[12:13]
	v_mul_f64 v[12:13], v[50:51], v[72:73]
	v_fma_f64 v[86:87], v[36:37], v[70:71], v[12:13]
	v_mul_f64 v[12:13], v[36:37], v[72:73]
	v_fma_f64 v[44:45], v[50:51], v[70:71], -v[12:13]
	global_load_dwordx4 v[12:15], v102, s[8:9] offset:112
	global_load_dwordx4 v[34:37], v102, s[8:9] offset:96
	;; [unrolled: 1-line block ×4, first 2 shown]
	s_waitcnt vmcnt(0) lgkmcnt(5)
	v_mul_f64 v[70:71], v[52:53], v[50:51]
	v_fma_f64 v[70:71], v[30:31], v[48:49], v[70:71]
	v_mul_f64 v[30:31], v[30:31], v[50:51]
	v_fma_f64 v[52:53], v[52:53], v[48:49], -v[30:31]
	v_mul_f64 v[30:31], v[54:55], v[40:41]
	v_fma_f64 v[72:73], v[32:33], v[38:39], v[30:31]
	v_mul_f64 v[30:31], v[32:33], v[40:41]
	v_fma_f64 v[54:55], v[54:55], v[38:39], -v[30:31]
	s_waitcnt lgkmcnt(4)
	v_mul_f64 v[30:31], v[8:9], v[36:37]
	v_fma_f64 v[98:99], v[4:5], v[34:35], v[30:31]
	v_mul_f64 v[4:5], v[4:5], v[36:37]
	v_fma_f64 v[4:5], v[8:9], v[34:35], -v[4:5]
	global_load_dwordx4 v[30:33], v102, s[8:9] offset:176
	global_load_dwordx4 v[34:37], v102, s[8:9] offset:160
	;; [unrolled: 1-line block ×4, first 2 shown]
	v_mul_f64 v[8:9], v[10:11], v[14:15]
	v_fma_f64 v[8:9], v[6:7], v[12:13], v[8:9]
	s_waitcnt vmcnt(0) lgkmcnt(3)
	v_mul_f64 v[100:101], v[56:57], v[50:51]
	v_fma_f64 v[100:101], v[24:25], v[48:49], v[100:101]
	v_mul_f64 v[24:25], v[24:25], v[50:51]
	v_fma_f64 v[50:51], v[56:57], v[48:49], -v[24:25]
	v_mul_f64 v[24:25], v[58:59], v[40:41]
	v_fma_f64 v[56:57], v[26:27], v[38:39], v[24:25]
	v_mul_f64 v[24:25], v[26:27], v[40:41]
	v_fma_f64 v[38:39], v[58:59], v[38:39], -v[24:25]
	s_waitcnt lgkmcnt(2)
	v_mul_f64 v[24:25], v[60:61], v[36:37]
	v_add_f64 v[38:39], v[88:89], -v[38:39]
	v_fma_f64 v[40:41], v[20:21], v[34:35], v[24:25]
	v_mul_f64 v[20:21], v[20:21], v[36:37]
	v_add_f64 v[40:41], v[90:91], -v[40:41]
	v_fma_f64 v[34:35], v[60:61], v[34:35], -v[20:21]
	v_mul_f64 v[20:21], v[62:63], v[32:33]
	v_add_f64 v[60:61], v[96:97], -v[100:101]
	v_add_f64 v[34:35], v[84:85], -v[34:35]
	v_fma_f64 v[36:37], v[22:23], v[30:31], v[20:21]
	v_mul_f64 v[20:21], v[22:23], v[32:33]
	v_fma_f64 v[48:49], v[62:63], v[30:31], -v[20:21]
	global_load_dwordx4 v[20:23], v102, s[8:9] offset:224
	global_load_dwordx4 v[24:27], v102, s[8:9] offset:208
	;; [unrolled: 1-line block ×3, first 2 shown]
	v_add_f64 v[62:63], v[92:93], -v[50:51]
	s_waitcnt lgkmcnt(0)
	; wave barrier
	s_waitcnt lgkmcnt(0)
	v_add_f64 v[48:49], v[44:45], -v[48:49]
	s_waitcnt vmcnt(0)
	v_mul_f64 v[58:59], v[64:65], v[32:33]
	v_fma_f64 v[58:59], v[16:17], v[30:31], v[58:59]
	v_mul_f64 v[16:17], v[16:17], v[32:33]
	v_fma_f64 v[16:17], v[64:65], v[30:31], -v[16:17]
	v_mul_f64 v[30:31], v[66:67], v[26:27]
	v_fma_f64 v[64:65], v[96:97], 2.0, -v[60:61]
	v_add_f64 v[16:17], v[52:53], -v[16:17]
	v_fma_f64 v[30:31], v[18:19], v[24:25], v[30:31]
	v_mul_f64 v[18:19], v[18:19], v[26:27]
	v_fma_f64 v[52:53], v[52:53], 2.0, -v[16:17]
	v_add_f64 v[30:31], v[72:73], -v[30:31]
	v_fma_f64 v[18:19], v[66:67], v[24:25], -v[18:19]
	v_mul_f64 v[24:25], v[78:79], v[22:23]
	v_mul_f64 v[22:23], v[46:47], v[22:23]
	v_fma_f64 v[66:67], v[92:93], 2.0, -v[62:63]
	v_add_f64 v[16:17], v[60:61], v[16:17]
	v_add_f64 v[18:19], v[54:55], -v[18:19]
	v_fma_f64 v[24:25], v[46:47], v[20:21], v[24:25]
	v_fma_f64 v[20:21], v[78:79], v[20:21], -v[22:23]
	v_add_f64 v[22:23], v[42:43], -v[8:9]
	v_add_f64 v[46:47], v[86:87], -v[36:37]
	;; [unrolled: 1-line block ×3, first 2 shown]
	v_fma_f64 v[56:57], v[72:73], 2.0, -v[30:31]
	v_add_f64 v[72:73], v[70:71], -v[58:59]
	v_fma_f64 v[8:9], v[88:89], 2.0, -v[38:39]
	v_add_f64 v[24:25], v[98:99], -v[24:25]
	v_add_f64 v[20:21], v[4:5], -v[20:21]
	v_fma_f64 v[54:55], v[54:55], 2.0, -v[18:19]
	v_fma_f64 v[78:79], v[84:85], 2.0, -v[34:35]
	v_add_f64 v[88:89], v[22:23], v[48:49]
	v_add_f64 v[18:19], v[36:37], v[18:19]
	v_fma_f64 v[58:59], v[70:71], 2.0, -v[72:73]
	v_fma_f64 v[70:71], v[90:91], 2.0, -v[40:41]
	;; [unrolled: 1-line block ×7, first 2 shown]
	v_add_f64 v[30:31], v[38:39], -v[30:31]
	v_fma_f64 v[36:37], v[36:37], 2.0, -v[18:19]
	v_add_f64 v[52:53], v[66:67], -v[52:53]
	v_add_f64 v[94:95], v[62:63], -v[72:73]
	;; [unrolled: 1-line block ×4, first 2 shown]
	v_add_f64 v[20:21], v[40:41], v[20:21]
	v_add_f64 v[24:25], v[34:35], -v[24:25]
	v_mul_f64 v[84:85], v[18:19], s[10:11]
	v_fma_f64 v[18:19], v[18:19], s[10:11], v[88:89]
	v_add_f64 v[32:33], v[26:27], -v[32:33]
	v_fma_f64 v[22:23], v[22:23], 2.0, -v[88:89]
	v_add_f64 v[56:57], v[42:43], -v[56:57]
	v_add_f64 v[50:51], v[8:9], -v[54:55]
	;; [unrolled: 1-line block ×3, first 2 shown]
	v_fma_f64 v[58:59], v[66:67], 2.0, -v[52:53]
	v_fma_f64 v[92:93], v[60:61], 2.0, -v[16:17]
	;; [unrolled: 1-line block ×6, first 2 shown]
	v_fma_f64 v[18:19], v[30:31], s[10:11], v[18:19]
	v_fma_f64 v[26:27], v[26:27], 2.0, -v[32:33]
	v_fma_f64 v[42:43], v[42:43], 2.0, -v[56:57]
	;; [unrolled: 1-line block ×5, first 2 shown]
	v_mul_f64 v[62:63], v[36:37], s[10:11]
	v_fma_f64 v[36:37], v[36:37], s[12:13], v[22:23]
	v_mul_f64 v[86:87], v[30:31], s[10:11]
	v_fma_f64 v[30:31], v[88:89], 2.0, -v[18:19]
	v_add_f64 v[88:89], v[58:59], -v[66:67]
	v_fma_f64 v[66:67], v[40:41], s[12:13], v[92:93]
	v_fma_f64 v[70:71], v[34:35], s[12:13], v[96:97]
	v_add_f64 v[4:5], v[54:55], v[4:5]
	v_add_f64 v[42:43], v[26:27], -v[42:43]
	v_fma_f64 v[36:37], v[38:39], s[10:11], v[36:37]
	v_add_f64 v[60:61], v[90:91], -v[60:61]
	v_mul_f64 v[64:65], v[38:39], s[10:11]
	v_add_f64 v[38:39], v[32:33], v[50:51]
	v_fma_f64 v[66:67], v[34:35], s[10:11], v[66:67]
	v_fma_f64 v[72:73], v[40:41], s[12:13], v[70:71]
	v_fma_f64 v[40:41], v[54:55], 2.0, -v[4:5]
	v_fma_f64 v[54:55], v[20:21], s[10:11], v[16:17]
	v_fma_f64 v[26:27], v[26:27], 2.0, -v[42:43]
	v_fma_f64 v[22:23], v[22:23], 2.0, -v[36:37]
	;; [unrolled: 1-line block ×3, first 2 shown]
	v_fma_f64 v[90:91], v[24:25], s[10:11], v[94:95]
	v_fma_f64 v[70:71], v[92:93], 2.0, -v[66:67]
	v_fma_f64 v[32:33], v[32:33], 2.0, -v[38:39]
	;; [unrolled: 1-line block ×3, first 2 shown]
	v_fma_f64 v[92:93], v[24:25], s[10:11], v[54:55]
	v_add_f64 v[34:35], v[52:53], -v[98:99]
	v_mul_f64 v[98:99], v[40:41], s[10:11]
	v_mul_f64 v[102:103], v[4:5], s[10:11]
	v_fma_f64 v[96:97], v[20:21], s[12:13], v[90:91]
	v_add_f64 v[20:21], v[26:27], -v[100:101]
	v_fma_f64 v[4:5], v[4:5], s[10:11], v[38:39]
	v_add_f64 v[54:55], v[42:43], v[88:89]
	v_fma_f64 v[90:91], v[16:17], 2.0, -v[92:93]
	v_fma_f64 v[16:17], v[70:71], s[2:3], v[22:23]
	v_fma_f64 v[52:53], v[52:53], 2.0, -v[34:35]
	v_mul_f64 v[104:105], v[34:35], s[10:11]
	v_fma_f64 v[94:95], v[94:95], 2.0, -v[96:97]
	v_fma_f64 v[24:25], v[26:27], 2.0, -v[20:21]
	v_fma_f64 v[4:5], v[34:35], s[10:11], v[4:5]
	v_fma_f64 v[42:43], v[42:43], 2.0, -v[54:55]
	v_fma_f64 v[26:27], v[78:79], s[6:7], v[16:17]
	v_fma_f64 v[16:17], v[40:41], s[12:13], v[32:33]
	s_mov_b32 s13, 0xbfd87de2
	s_mov_b32 s12, s6
	v_mul_f64 v[100:101], v[52:53], s[10:11]
	v_fma_f64 v[34:35], v[38:39], 2.0, -v[4:5]
	v_fma_f64 v[22:23], v[22:23], 2.0, -v[26:27]
	v_fma_f64 v[40:41], v[52:53], s[10:11], v[16:17]
	v_fma_f64 v[16:17], v[90:91], s[12:13], v[30:31]
	v_fma_f64 v[32:33], v[32:33], 2.0, -v[40:41]
	v_fma_f64 v[52:53], v[94:95], s[16:17], v[16:17]
	v_fma_f64 v[16:17], v[66:67], s[6:7], v[36:37]
	;; [unrolled: 3-line block ×3, first 2 shown]
	v_fma_f64 v[36:37], v[36:37], 2.0, -v[114:115]
	v_fma_f64 v[16:17], v[96:97], s[6:7], v[16:17]
	v_fma_f64 v[18:19], v[18:19], 2.0, -v[16:17]
	ds_write2_b64 v113, v[24:25], v[22:23] offset1:3
	ds_write2_b64 v113, v[32:33], v[30:31] offset0:6 offset1:9
	ds_write2_b64 v113, v[42:43], v[36:37] offset0:12 offset1:15
	;; [unrolled: 1-line block ×7, first 2 shown]
	s_waitcnt lgkmcnt(0)
	; wave barrier
	s_waitcnt lgkmcnt(0)
	ds_read_b64 v[4:5], v112
	ds_read2_b64 v[52:55], v111 offset0:144 offset1:171
	ds_read2_b64 v[28:31], v107 offset0:124 offset1:160
	;; [unrolled: 1-line block ×7, first 2 shown]
	s_and_saveexec_b64 s[10:11], vcc
	s_cbranch_execz .LBB0_21
; %bb.20:
	v_add_u32_e32 v16, 0x400, v111
	ds_read2_b64 v[16:19], v16 offset0:7 offset1:151
	ds_read_b64 v[74:75], v111 offset:3384
	s_waitcnt lgkmcnt(1)
	v_mov_b32_e32 v77, v19
	v_mov_b32_e32 v76, v18
.LBB0_21:
	s_or_b64 exec, exec, s[10:11]
	v_mul_f64 v[6:7], v[6:7], v[14:15]
	v_fma_f64 v[8:9], v[8:9], 2.0, -v[50:51]
	s_waitcnt lgkmcnt(0)
	; wave barrier
	s_waitcnt lgkmcnt(0)
	v_fma_f64 v[6:7], v[10:11], v[12:13], -v[6:7]
	v_fma_f64 v[12:13], v[44:45], 2.0, -v[48:49]
	v_fma_f64 v[48:49], v[58:59], 2.0, -v[88:89]
	v_add_f64 v[6:7], v[0:1], -v[6:7]
	v_add_f64 v[10:11], v[6:7], -v[46:47]
	v_fma_f64 v[0:1], v[0:1], 2.0, -v[6:7]
	v_fma_f64 v[6:7], v[6:7], 2.0, -v[10:11]
	v_add_f64 v[12:13], v[0:1], -v[12:13]
	v_add_f64 v[14:15], v[10:11], v[86:87]
	v_add_f64 v[18:19], v[6:7], -v[64:65]
	v_add_f64 v[44:45], v[12:13], -v[56:57]
	;; [unrolled: 1-line block ×3, first 2 shown]
	v_fma_f64 v[0:1], v[0:1], 2.0, -v[12:13]
	v_add_f64 v[46:47], v[18:19], -v[62:63]
	v_fma_f64 v[12:13], v[12:13], 2.0, -v[44:45]
	v_fma_f64 v[10:11], v[10:11], 2.0, -v[14:15]
	v_add_f64 v[8:9], v[0:1], -v[8:9]
	v_add_f64 v[50:51], v[44:45], v[104:105]
	v_fma_f64 v[56:57], v[96:97], s[16:17], v[14:15]
	v_add_u32_e32 v18, 0x400, v111
	v_add_u32_e32 v19, 0x800, v111
	v_fma_f64 v[6:7], v[6:7], 2.0, -v[46:47]
	v_add_f64 v[58:59], v[12:13], -v[100:101]
	v_fma_f64 v[62:63], v[94:95], s[12:13], v[10:11]
	v_fma_f64 v[64:65], v[72:73], s[6:7], v[46:47]
	v_fma_f64 v[72:73], v[0:1], 2.0, -v[8:9]
	v_add_f64 v[50:51], v[50:51], -v[102:103]
	v_fma_f64 v[0:1], v[92:93], s[12:13], v[56:57]
	v_add_f64 v[56:57], v[8:9], -v[60:61]
	v_fma_f64 v[78:79], v[78:79], s[2:3], v[6:7]
	;; [unrolled: 2-line block ×3, first 2 shown]
	v_fma_f64 v[62:63], v[66:67], s[2:3], v[64:65]
	v_add_f64 v[48:49], v[72:73], -v[48:49]
	v_fma_f64 v[44:45], v[44:45], 2.0, -v[50:51]
	v_fma_f64 v[14:15], v[14:15], 2.0, -v[0:1]
	;; [unrolled: 1-line block ×3, first 2 shown]
	v_fma_f64 v[64:65], v[70:71], s[12:13], v[78:79]
	v_fma_f64 v[12:13], v[12:13], 2.0, -v[58:59]
	v_fma_f64 v[10:11], v[10:11], 2.0, -v[60:61]
	;; [unrolled: 1-line block ×5, first 2 shown]
	ds_write2_b64 v113, v[50:51], v[0:1] offset0:42 offset1:45
	ds_write2_b64 v113, v[44:45], v[14:15] offset0:18 offset1:21
	;; [unrolled: 1-line block ×7, first 2 shown]
	ds_write2_b64 v113, v[66:67], v[6:7] offset1:3
	s_waitcnt lgkmcnt(0)
	; wave barrier
	s_waitcnt lgkmcnt(0)
	ds_read_b64 v[14:15], v112
	ds_read2_b64 v[64:67], v111 offset0:144 offset1:171
	ds_read2_b64 v[44:47], v18 offset0:124 offset1:160
	;; [unrolled: 1-line block ×7, first 2 shown]
	s_and_saveexec_b64 s[2:3], vcc
	s_cbranch_execz .LBB0_23
; %bb.22:
	ds_read2_b64 v[0:3], v18 offset0:7 offset1:151
	ds_read_b64 v[68:69], v111 offset:3384
.LBB0_23:
	s_or_b64 exec, exec, s[2:3]
	v_lshlrev_b32_e32 v84, 1, v108
	v_mov_b32_e32 v85, 0
	v_lshlrev_b64 v[18:19], 4, v[84:85]
	v_mov_b32_e32 v96, s9
	v_add_co_u32_e64 v86, s[2:3], s8, v18
	v_addc_co_u32_e64 v87, s[2:3], v96, v19, s[2:3]
	global_load_dwordx4 v[88:91], v[86:87], off offset:736
	global_load_dwordx4 v[92:95], v[86:87], off offset:720
	v_add_u32_e32 v113, 27, v108
	v_cmp_gt_u32_e64 s[2:3], 21, v108
	v_add_u32_e32 v84, 12, v84
	v_add_u32_e32 v114, 0x51, v108
	;; [unrolled: 1-line block ×3, first 2 shown]
	s_mov_b32 s7, 0x3febb67a
	s_waitcnt vmcnt(0) lgkmcnt(6)
	v_mul_f64 v[18:19], v[64:65], v[94:95]
	v_fma_f64 v[70:71], v[52:53], v[92:93], v[18:19]
	v_mul_f64 v[18:19], v[52:53], v[94:95]
	v_fma_f64 v[52:53], v[64:65], v[92:93], -v[18:19]
	s_waitcnt lgkmcnt(5)
	v_mul_f64 v[18:19], v[46:47], v[90:91]
	v_fma_f64 v[72:73], v[30:31], v[88:89], v[18:19]
	v_mul_f64 v[18:19], v[30:31], v[90:91]
	v_subrev_u32_e32 v30, 21, v108
	v_cndmask_b32_e64 v64, v30, v113, s[2:3]
	v_lshlrev_b32_e32 v30, 1, v64
	v_mov_b32_e32 v31, v85
	v_lshlrev_b64 v[30:31], 4, v[30:31]
	v_add_co_u32_e64 v30, s[2:3], s8, v30
	v_addc_co_u32_e64 v31, s[2:3], v96, v31, s[2:3]
	v_fma_f64 v[18:19], v[46:47], v[88:89], -v[18:19]
	global_load_dwordx4 v[88:91], v[30:31], off offset:736
	global_load_dwordx4 v[92:95], v[30:31], off offset:720
	s_waitcnt vmcnt(0)
	v_mul_f64 v[30:31], v[66:67], v[94:95]
	v_fma_f64 v[46:47], v[54:55], v[92:93], v[30:31]
	v_mul_f64 v[30:31], v[54:55], v[94:95]
	v_fma_f64 v[54:55], v[66:67], v[92:93], -v[30:31]
	s_waitcnt lgkmcnt(3)
	v_mul_f64 v[30:31], v[60:61], v[90:91]
	v_fma_f64 v[78:79], v[40:41], v[88:89], v[30:31]
	v_mul_f64 v[30:31], v[40:41], v[90:91]
	v_lshlrev_b64 v[40:41], 4, v[84:85]
	v_add_co_u32_e64 v40, s[2:3], s8, v40
	v_addc_co_u32_e64 v41, s[2:3], v96, v41, s[2:3]
	global_load_dwordx4 v[96:99], v[40:41], off offset:736
	global_load_dwordx4 v[92:95], v[40:41], off offset:720
	s_movk_i32 s2, 0xab
	v_fma_f64 v[30:31], v[60:61], v[88:89], -v[30:31]
	v_mov_b32_e32 v60, 5
	s_waitcnt vmcnt(0) lgkmcnt(2)
	v_mul_f64 v[40:41], v[56:57], v[94:95]
	v_fma_f64 v[90:91], v[36:37], v[92:93], v[40:41]
	v_mul_f64 v[36:37], v[36:37], v[94:95]
	v_fma_f64 v[94:95], v[56:57], v[92:93], -v[36:37]
	v_mul_f64 v[36:37], v[62:63], v[98:99]
	v_fma_f64 v[92:93], v[42:43], v[96:97], v[36:37]
	v_mul_f64 v[36:37], v[42:43], v[98:99]
	v_fma_f64 v[56:57], v[62:63], v[96:97], -v[36:37]
	v_mul_lo_u16_sdwa v36, v114, s2 dst_sel:DWORD dst_unused:UNUSED_PAD src0_sel:BYTE_0 src1_sel:DWORD
	v_lshrrev_b16_e32 v117, 13, v36
	v_mul_lo_u16_e32 v36, 48, v117
	v_sub_u16_e32 v118, v114, v36
	v_lshlrev_b32_sdwa v36, v60, v118 dst_sel:DWORD dst_unused:UNUSED_PAD src0_sel:DWORD src1_sel:BYTE_0
	global_load_dwordx4 v[40:43], v36, s[8:9] offset:736
	global_load_dwordx4 v[96:99], v36, s[8:9] offset:720
	s_waitcnt vmcnt(0)
	v_mul_f64 v[36:37], v[58:59], v[98:99]
	v_fma_f64 v[62:63], v[38:39], v[96:97], v[36:37]
	v_mul_f64 v[36:37], v[38:39], v[98:99]
	v_fma_f64 v[96:97], v[58:59], v[96:97], -v[36:37]
	s_waitcnt lgkmcnt(0)
	v_mul_f64 v[36:37], v[48:49], v[42:43]
	v_fma_f64 v[98:99], v[32:33], v[40:41], v[36:37]
	v_mul_f64 v[32:33], v[32:33], v[42:43]
	v_fma_f64 v[48:49], v[48:49], v[40:41], -v[32:33]
	v_mul_lo_u16_sdwa v32, v115, s2 dst_sel:DWORD dst_unused:UNUSED_PAD src0_sel:BYTE_0 src1_sel:DWORD
	v_lshrrev_b16_e32 v32, 13, v32
	v_mul_lo_u16_e32 v32, 48, v32
	v_sub_u16_e32 v119, v115, v32
	v_lshlrev_b32_sdwa v32, v60, v119 dst_sel:DWORD dst_unused:UNUSED_PAD src0_sel:DWORD src1_sel:BYTE_0
	global_load_dwordx4 v[36:39], v32, s[8:9] offset:736
	global_load_dwordx4 v[40:43], v32, s[8:9] offset:720
	s_waitcnt vmcnt(0)
	v_mul_f64 v[32:33], v[44:45], v[42:43]
	v_fma_f64 v[100:101], v[28:29], v[40:41], v[32:33]
	v_mul_f64 v[28:29], v[28:29], v[42:43]
	v_mul_lo_u16_sdwa v32, v109, s2 dst_sel:DWORD dst_unused:UNUSED_PAD src0_sel:BYTE_0 src1_sel:DWORD
	v_lshrrev_b16_e32 v32, 13, v32
	v_mul_lo_u16_e32 v32, 48, v32
	v_sub_u16_e32 v116, v109, v32
	s_mov_b32 s2, 0xe8584caa
	s_mov_b32 s3, 0xbfebb67a
	;; [unrolled: 1-line block ×3, first 2 shown]
	v_fma_f64 v[44:45], v[44:45], v[40:41], -v[28:29]
	v_mul_f64 v[28:29], v[50:51], v[38:39]
	v_lshlrev_b32_sdwa v40, v60, v116 dst_sel:DWORD dst_unused:UNUSED_PAD src0_sel:DWORD src1_sel:BYTE_0
	v_fma_f64 v[102:103], v[34:35], v[36:37], v[28:29]
	v_mul_f64 v[28:29], v[34:35], v[38:39]
	v_fma_f64 v[28:29], v[50:51], v[36:37], -v[28:29]
	global_load_dwordx4 v[32:35], v40, s[8:9] offset:736
	global_load_dwordx4 v[36:39], v40, s[8:9] offset:720
	s_waitcnt lgkmcnt(0)
	; wave barrier
	s_waitcnt vmcnt(0)
	v_mul_f64 v[40:41], v[2:3], v[38:39]
	v_mul_f64 v[38:39], v[76:77], v[38:39]
	v_fma_f64 v[104:105], v[76:77], v[36:37], v[40:41]
	v_fma_f64 v[76:77], v[2:3], v[36:37], -v[38:39]
	v_mul_f64 v[2:3], v[68:69], v[34:35]
	v_fma_f64 v[106:107], v[74:75], v[32:33], v[2:3]
	v_mul_f64 v[2:3], v[74:75], v[34:35]
	v_fma_f64 v[50:51], v[68:69], v[32:33], -v[2:3]
	v_add_f64 v[2:3], v[4:5], v[70:71]
	v_add_f64 v[84:85], v[76:77], -v[50:51]
	v_add_f64 v[32:33], v[2:3], v[72:73]
	v_add_f64 v[2:3], v[70:71], v[72:73]
	v_fma_f64 v[2:3], v[2:3], -0.5, v[4:5]
	v_add_f64 v[4:5], v[52:53], -v[18:19]
	v_fma_f64 v[34:35], v[4:5], s[2:3], v[2:3]
	v_fma_f64 v[36:37], v[4:5], s[6:7], v[2:3]
	v_add_f64 v[2:3], v[24:25], v[46:47]
	v_add_f64 v[4:5], v[54:55], -v[30:31]
	ds_write2_b64 v111, v[32:33], v[34:35] offset1:48
	ds_write_b64 v111, v[36:37] offset:768
	v_add_f64 v[38:39], v[2:3], v[78:79]
	v_add_f64 v[2:3], v[46:47], v[78:79]
	v_fma_f64 v[2:3], v[2:3], -0.5, v[24:25]
	v_fma_f64 v[24:25], v[4:5], s[2:3], v[2:3]
	v_fma_f64 v[40:41], v[4:5], s[6:7], v[2:3]
	v_add_f64 v[2:3], v[26:27], v[90:91]
	v_add_f64 v[4:5], v[94:95], -v[56:57]
	v_add_f64 v[42:43], v[2:3], v[92:93]
	v_add_f64 v[2:3], v[90:91], v[92:93]
	v_fma_f64 v[2:3], v[2:3], -0.5, v[26:27]
	v_fma_f64 v[26:27], v[4:5], s[2:3], v[2:3]
	v_fma_f64 v[58:59], v[4:5], s[6:7], v[2:3]
	v_add_f64 v[2:3], v[20:21], v[62:63]
	v_add_f64 v[4:5], v[96:97], -v[48:49]
	v_add_f64 v[60:61], v[2:3], v[98:99]
	v_add_f64 v[2:3], v[62:63], v[98:99]
	v_fma_f64 v[2:3], v[2:3], -0.5, v[20:21]
	v_mov_b32_e32 v20, 3
	v_fma_f64 v[65:66], v[4:5], s[2:3], v[2:3]
	v_fma_f64 v[67:68], v[4:5], s[6:7], v[2:3]
	v_add_f64 v[2:3], v[22:23], v[100:101]
	v_add_f64 v[4:5], v[44:45], -v[28:29]
	v_add_f64 v[74:75], v[2:3], v[102:103]
	v_add_f64 v[2:3], v[100:101], v[102:103]
	v_fma_f64 v[2:3], v[2:3], -0.5, v[22:23]
	v_lshlrev_b32_sdwa v23, v20, v118 dst_sel:DWORD dst_unused:UNUSED_PAD src0_sel:DWORD src1_sel:BYTE_0
	v_fma_f64 v[21:22], v[4:5], s[2:3], v[2:3]
	v_fma_f64 v[88:89], v[4:5], s[6:7], v[2:3]
	v_add_f64 v[4:5], v[104:105], v[106:107]
	v_add_f64 v[2:3], v[16:17], v[104:105]
	v_fma_f64 v[16:17], v[4:5], -0.5, v[16:17]
	v_add_f64 v[2:3], v[2:3], v[106:107]
	v_fma_f64 v[4:5], v[84:85], s[2:3], v[16:17]
	v_fma_f64 v[84:85], v[84:85], s[6:7], v[16:17]
	v_cmp_lt_u32_e64 s[2:3], 20, v108
	v_mov_b32_e32 v16, 0x480
	v_cndmask_b32_e64 v16, 0, v16, s[2:3]
	s_movk_i32 s6, 0x480
	v_add_u32_e32 v16, 0, v16
	v_lshlrev_b32_e32 v17, 3, v64
	v_add3_u32 v16, v16, v17, v110
	v_mad_u32_u24 v17, v117, s6, 0
	v_add3_u32 v17, v17, v23, v110
	v_lshlrev_b32_sdwa v23, v20, v119 dst_sel:DWORD dst_unused:UNUSED_PAD src0_sel:DWORD src1_sel:BYTE_0
	ds_write2_b64 v16, v[38:39], v[24:25] offset1:48
	ds_write_b64 v16, v[40:41] offset:768
	ds_write2_b64 v111, v[42:43], v[26:27] offset0:150 offset1:198
	ds_write_b64 v111, v[58:59] offset:1968
	ds_write2_b64 v17, v[60:61], v[65:66] offset1:48
	ds_write_b64 v17, v[67:68] offset:768
	v_add3_u32 v68, 0, v23, v110
	v_add_u32_e32 v23, 0x800, v68
	ds_write2_b64 v23, v[74:75], v[21:22] offset0:32 offset1:80
	ds_write_b64 v68, v[88:89] offset:3072
	s_and_saveexec_b64 s[2:3], vcc
	s_cbranch_execz .LBB0_25
; %bb.24:
	v_lshlrev_b32_sdwa v20, v20, v116 dst_sel:DWORD dst_unused:UNUSED_PAD src0_sel:DWORD src1_sel:BYTE_0
	v_add3_u32 v20, 0, v20, v110
	v_add_u32_e32 v21, 0x800, v20
	ds_write2_b64 v21, v[2:3], v[4:5] offset0:32 offset1:80
	ds_write_b64 v20, v[84:85] offset:3072
.LBB0_25:
	s_or_b64 exec, exec, s[2:3]
	v_add_u32_e32 v75, 0x400, v111
	v_add_u32_e32 v24, 0x800, v111
	s_waitcnt lgkmcnt(0)
	; wave barrier
	s_waitcnt lgkmcnt(0)
	ds_read_b64 v[88:89], v112
	ds_read2_b64 v[36:39], v111 offset0:144 offset1:171
	ds_read2_b64 v[20:23], v75 offset0:124 offset1:160
	;; [unrolled: 1-line block ×7, first 2 shown]
	v_add_u32_e32 v69, 48, v111
	v_add_u32_e32 v74, 0x600, v111
	s_and_saveexec_b64 s[2:3], vcc
	s_cbranch_execz .LBB0_27
; %bb.26:
	ds_read2_b64 v[2:5], v75 offset0:7 offset1:151
	ds_read_b64 v[84:85], v111 offset:3384
.LBB0_27:
	s_or_b64 exec, exec, s[2:3]
	v_add_f64 v[117:118], v[52:53], v[18:19]
	v_add_f64 v[70:71], v[70:71], -v[72:73]
	v_add_f64 v[72:73], v[54:55], v[30:31]
	v_add_f64 v[119:120], v[94:95], v[56:57]
	;; [unrolled: 1-line block ×4, first 2 shown]
	v_add_f64 v[46:47], v[46:47], -v[78:79]
	v_add_f64 v[78:79], v[12:13], v[94:95]
	v_fma_f64 v[14:15], v[117:118], -0.5, v[14:15]
	s_mov_b32 s2, 0xe8584caa
	v_fma_f64 v[10:11], v[72:73], -0.5, v[10:11]
	v_fma_f64 v[12:13], v[119:120], -0.5, v[12:13]
	v_add_f64 v[72:73], v[90:91], -v[92:93]
	s_mov_b32 s3, 0x3febb67a
	s_mov_b32 s7, 0xbfebb67a
	;; [unrolled: 1-line block ×3, first 2 shown]
	v_add_f64 v[18:19], v[52:53], v[18:19]
	v_fma_f64 v[52:53], v[70:71], s[2:3], v[14:15]
	v_fma_f64 v[14:15], v[70:71], s[6:7], v[14:15]
	v_add_f64 v[30:31], v[54:55], v[30:31]
	v_fma_f64 v[54:55], v[46:47], s[2:3], v[10:11]
	v_add_f64 v[70:71], v[96:97], v[48:49]
	;; [unrolled: 2-line block ×3, first 2 shown]
	v_add_f64 v[56:57], v[44:45], v[28:29]
	v_fma_f64 v[78:79], v[72:73], s[2:3], v[12:13]
	v_fma_f64 v[12:13], v[72:73], s[6:7], v[12:13]
	v_add_f64 v[72:73], v[76:77], v[50:51]
	v_add_f64 v[90:91], v[6:7], v[96:97]
	v_fma_f64 v[6:7], v[70:71], -0.5, v[6:7]
	v_add_f64 v[62:63], v[62:63], -v[98:99]
	v_add_f64 v[44:45], v[8:9], v[44:45]
	v_fma_f64 v[8:9], v[56:57], -0.5, v[8:9]
	v_add_f64 v[56:57], v[100:101], -v[102:103]
	;; [unrolled: 3-line block ×3, first 2 shown]
	v_add_f64 v[48:49], v[90:91], v[48:49]
	v_fma_f64 v[75:76], v[62:63], s[2:3], v[6:7]
	v_fma_f64 v[62:63], v[62:63], s[6:7], v[6:7]
	v_add_f64 v[28:29], v[44:45], v[28:29]
	v_fma_f64 v[44:45], v[56:57], s[2:3], v[8:9]
	v_fma_f64 v[56:57], v[56:57], s[6:7], v[8:9]
	;; [unrolled: 3-line block ×3, first 2 shown]
	s_waitcnt lgkmcnt(0)
	; wave barrier
	s_waitcnt lgkmcnt(0)
	ds_write2_b64 v111, v[18:19], v[52:53] offset1:48
	ds_write_b64 v111, v[14:15] offset:768
	ds_write2_b64 v16, v[30:31], v[54:55] offset1:48
	ds_write_b64 v16, v[10:11] offset:768
	ds_write_b64 v74, v[78:79] offset:48
	ds_write2_b64 v69, v[46:47], v[12:13] offset0:144 offset1:240
	ds_write2_b64 v17, v[48:49], v[75:76] offset1:48
	ds_write_b64 v17, v[62:63] offset:768
	v_add_u32_e32 v10, 0x800, v68
	ds_write2_b64 v10, v[28:29], v[44:45] offset0:32 offset1:80
	ds_write_b64 v68, v[56:57] offset:3072
	s_and_saveexec_b64 s[2:3], vcc
	s_cbranch_execz .LBB0_29
; %bb.28:
	v_mov_b32_e32 v10, 3
	v_lshlrev_b32_sdwa v10, v10, v116 dst_sel:DWORD dst_unused:UNUSED_PAD src0_sel:DWORD src1_sel:BYTE_0
	v_add3_u32 v10, 0, v10, v110
	v_add_u32_e32 v11, 0x800, v10
	ds_write2_b64 v11, v[6:7], v[8:9] offset0:32 offset1:80
	ds_write_b64 v10, v[0:1] offset:3072
.LBB0_29:
	s_or_b64 exec, exec, s[2:3]
	v_add_u32_e32 v10, 0x400, v111
	v_add_u32_e32 v11, 0x800, v111
	s_waitcnt lgkmcnt(0)
	; wave barrier
	s_waitcnt lgkmcnt(0)
	ds_read_b64 v[92:93], v112
	ds_read2_b64 v[54:57], v111 offset0:144 offset1:171
	ds_read2_b64 v[50:53], v10 offset0:124 offset1:160
	;; [unrolled: 1-line block ×7, first 2 shown]
	s_and_saveexec_b64 s[2:3], vcc
	s_cbranch_execz .LBB0_31
; %bb.30:
	ds_read2_b64 v[6:9], v10 offset0:7 offset1:151
	ds_read_b64 v[0:1], v111 offset:3384
.LBB0_31:
	s_or_b64 exec, exec, s[2:3]
	s_and_saveexec_b64 s[2:3], s[0:1]
	s_cbranch_execz .LBB0_34
; %bb.32:
	v_mul_lo_u32 v10, s5, v82
	v_mul_lo_u32 v11, s4, v83
	v_mad_u64_u32 v[90:91], s[0:1], s4, v82, 0
	v_lshlrev_b32_e32 v82, 1, v115
	v_mov_b32_e32 v83, 0
	v_add3_u32 v91, v91, v11, v10
	v_lshlrev_b64 v[10:11], 4, v[82:83]
	v_mov_b32_e32 v98, s9
	v_add_co_u32_e64 v18, s[0:1], s8, v10
	v_addc_co_u32_e64 v19, s[0:1], v98, v11, s[0:1]
	global_load_dwordx4 v[10:13], v[18:19], off offset:2272
	global_load_dwordx4 v[14:17], v[18:19], off offset:2256
	s_mov_b32 s2, 0xe8584caa
	s_mov_b32 s3, 0xbfebb67a
	;; [unrolled: 1-line block ×4, first 2 shown]
	v_lshlrev_b32_e32 v82, 1, v114
	s_mov_b32 s7, 0x38e38e39
	s_movk_i32 s6, 0x90
	s_movk_i32 s10, 0x1b0
	s_waitcnt vmcnt(1)
	v_mul_f64 v[48:49], v[26:27], v[12:13]
	s_waitcnt vmcnt(0)
	v_mul_f64 v[18:19], v[20:21], v[16:17]
	s_waitcnt lgkmcnt(5)
	v_mul_f64 v[16:17], v[50:51], v[16:17]
	s_waitcnt lgkmcnt(0)
	v_mul_f64 v[12:13], v[78:79], v[12:13]
	v_fma_f64 v[48:49], v[78:79], v[10:11], -v[48:49]
	v_fma_f64 v[18:19], v[50:51], v[14:15], -v[18:19]
	v_fma_f64 v[50:51], v[20:21], v[14:15], v[16:17]
	v_fma_f64 v[26:27], v[26:27], v[10:11], v[12:13]
	v_add_f64 v[62:63], v[18:19], v[48:49]
	v_add_f64 v[14:15], v[18:19], -v[48:49]
	v_add_f64 v[10:11], v[50:51], -v[26:27]
	v_fma_f64 v[62:63], v[62:63], -0.5, v[30:31]
	v_fma_f64 v[12:13], v[10:11], s[2:3], v[62:63]
	v_fma_f64 v[16:17], v[10:11], s[4:5], v[62:63]
	v_add_f64 v[10:11], v[30:31], v[18:19]
	v_add_f64 v[20:21], v[10:11], v[48:49]
	;; [unrolled: 1-line block ×3, first 2 shown]
	v_fma_f64 v[18:19], v[10:11], -0.5, v[34:35]
	v_fma_f64 v[10:11], v[14:15], s[4:5], v[18:19]
	v_fma_f64 v[14:15], v[14:15], s[2:3], v[18:19]
	v_add_f64 v[18:19], v[34:35], v[50:51]
	v_add_f64 v[18:19], v[18:19], v[26:27]
	v_lshlrev_b64 v[26:27], 4, v[82:83]
	v_add_co_u32_e64 v26, s[0:1], s8, v26
	v_addc_co_u32_e64 v27, s[0:1], v98, v27, s[0:1]
	global_load_dwordx4 v[48:51], v[26:27], off offset:2272
	global_load_dwordx4 v[94:97], v[26:27], off offset:2256
	s_waitcnt vmcnt(0)
	v_mul_f64 v[26:27], v[42:43], v[96:97]
	v_fma_f64 v[62:63], v[46:47], v[94:95], -v[26:27]
	v_mul_f64 v[26:27], v[24:25], v[50:51]
	v_fma_f64 v[78:79], v[76:77], v[48:49], -v[26:27]
	v_add_f64 v[26:27], v[62:63], v[78:79]
	v_fma_f64 v[30:31], v[26:27], -0.5, v[28:29]
	v_mul_f64 v[26:27], v[46:47], v[96:97]
	v_fma_f64 v[42:43], v[42:43], v[94:95], v[26:27]
	v_mul_f64 v[26:27], v[76:77], v[50:51]
	v_fma_f64 v[46:47], v[24:25], v[48:49], v[26:27]
	v_add_f64 v[24:25], v[42:43], -v[46:47]
	v_fma_f64 v[26:27], v[24:25], s[2:3], v[30:31]
	v_fma_f64 v[30:31], v[24:25], s[4:5], v[30:31]
	v_add_f64 v[24:25], v[28:29], v[62:63]
	v_add_f64 v[28:29], v[62:63], -v[78:79]
	v_add_f64 v[34:35], v[24:25], v[78:79]
	v_add_f64 v[24:25], v[42:43], v[46:47]
	v_fma_f64 v[48:49], v[24:25], -0.5, v[32:33]
	v_add_f64 v[32:33], v[32:33], v[42:43]
	v_mov_b32_e32 v42, 0x6c
	v_lshl_add_u32 v82, v108, 1, v42
	v_lshlrev_b64 v[42:43], 4, v[82:83]
	v_lshlrev_b32_e32 v82, 1, v113
	v_add_co_u32_e64 v42, s[0:1], s8, v42
	v_addc_co_u32_e64 v43, s[0:1], v98, v43, s[0:1]
	v_fma_f64 v[24:25], v[28:29], s[4:5], v[48:49]
	v_fma_f64 v[28:29], v[28:29], s[2:3], v[48:49]
	v_add_f64 v[32:33], v[32:33], v[46:47]
	global_load_dwordx4 v[46:49], v[42:43], off offset:2272
	global_load_dwordx4 v[76:79], v[42:43], off offset:2256
	s_waitcnt vmcnt(0)
	v_mul_f64 v[42:43], v[40:41], v[78:79]
	v_fma_f64 v[62:63], v[44:45], v[76:77], -v[42:43]
	v_mul_f64 v[42:43], v[60:61], v[48:49]
	v_fma_f64 v[94:95], v[74:75], v[46:47], -v[42:43]
	v_add_f64 v[42:43], v[62:63], v[94:95]
	v_fma_f64 v[50:51], v[42:43], -0.5, v[70:71]
	v_mul_f64 v[42:43], v[44:45], v[78:79]
	v_add_f64 v[44:45], v[62:63], -v[94:95]
	v_fma_f64 v[76:77], v[40:41], v[76:77], v[42:43]
	v_mul_f64 v[40:41], v[74:75], v[48:49]
	v_fma_f64 v[48:49], v[60:61], v[46:47], v[40:41]
	v_add_f64 v[40:41], v[76:77], -v[48:49]
	v_fma_f64 v[42:43], v[40:41], s[2:3], v[50:51]
	v_fma_f64 v[46:47], v[40:41], s[4:5], v[50:51]
	v_add_f64 v[40:41], v[70:71], v[62:63]
	v_add_f64 v[50:51], v[40:41], v[94:95]
	;; [unrolled: 1-line block ×3, first 2 shown]
	v_fma_f64 v[60:61], v[40:41], -0.5, v[66:67]
	v_fma_f64 v[40:41], v[44:45], s[4:5], v[60:61]
	v_fma_f64 v[44:45], v[44:45], s[2:3], v[60:61]
	v_add_f64 v[60:61], v[66:67], v[76:77]
	v_add_f64 v[48:49], v[60:61], v[48:49]
	v_lshlrev_b64 v[60:61], 4, v[82:83]
	v_add_co_u32_e64 v66, s[0:1], s8, v60
	v_addc_co_u32_e64 v67, s[0:1], v98, v61, s[0:1]
	global_load_dwordx4 v[60:63], v[66:67], off offset:2272
	global_load_dwordx4 v[74:77], v[66:67], off offset:2256
	s_waitcnt vmcnt(0)
	v_mul_f64 v[66:67], v[38:39], v[76:77]
	v_fma_f64 v[70:71], v[56:57], v[74:75], -v[66:67]
	v_mul_f64 v[66:67], v[58:59], v[62:63]
	v_mul_f64 v[56:57], v[56:57], v[76:77]
	v_fma_f64 v[78:79], v[72:73], v[60:61], -v[66:67]
	v_fma_f64 v[38:39], v[38:39], v[74:75], v[56:57]
	v_mul_f64 v[56:57], v[72:73], v[62:63]
	v_add_f64 v[66:67], v[70:71], v[78:79]
	v_fma_f64 v[72:73], v[58:59], v[60:61], v[56:57]
	v_add_f64 v[60:61], v[70:71], -v[78:79]
	v_fma_f64 v[66:67], v[66:67], -0.5, v[68:69]
	v_add_f64 v[56:57], v[38:39], -v[72:73]
	v_fma_f64 v[58:59], v[56:57], s[2:3], v[66:67]
	v_fma_f64 v[62:63], v[56:57], s[4:5], v[66:67]
	v_add_f64 v[56:57], v[68:69], v[70:71]
	v_add_f64 v[66:67], v[56:57], v[78:79]
	v_add_f64 v[56:57], v[38:39], v[72:73]
	v_add_f64 v[38:39], v[64:65], v[38:39]
	v_fma_f64 v[68:69], v[56:57], -0.5, v[64:65]
	v_add_f64 v[64:65], v[38:39], v[72:73]
	v_fma_f64 v[56:57], v[60:61], s[4:5], v[68:69]
	v_fma_f64 v[60:61], v[60:61], s[2:3], v[68:69]
	global_load_dwordx4 v[68:71], v[86:87], off offset:2272
	global_load_dwordx4 v[72:75], v[86:87], off offset:2256
	s_waitcnt vmcnt(0)
	v_mul_f64 v[38:39], v[36:37], v[74:75]
	v_fma_f64 v[76:77], v[54:55], v[72:73], -v[38:39]
	v_mul_f64 v[38:39], v[22:23], v[70:71]
	v_fma_f64 v[78:79], v[52:53], v[68:69], -v[38:39]
	v_add_f64 v[38:39], v[76:77], v[78:79]
	v_fma_f64 v[86:87], v[38:39], -0.5, v[92:93]
	v_mul_f64 v[38:39], v[54:55], v[74:75]
	v_fma_f64 v[72:73], v[36:37], v[72:73], v[38:39]
	v_mul_f64 v[36:37], v[52:53], v[70:71]
	v_add_f64 v[52:53], v[76:77], -v[78:79]
	v_fma_f64 v[22:23], v[22:23], v[68:69], v[36:37]
	v_add_f64 v[36:37], v[72:73], -v[22:23]
	v_fma_f64 v[38:39], v[36:37], s[2:3], v[86:87]
	v_fma_f64 v[54:55], v[36:37], s[4:5], v[86:87]
	v_add_f64 v[36:37], v[92:93], v[76:77]
	v_add_f64 v[70:71], v[36:37], v[78:79]
	;; [unrolled: 1-line block ×3, first 2 shown]
	v_fma_f64 v[68:69], v[36:37], -0.5, v[88:89]
	v_fma_f64 v[36:37], v[52:53], s[4:5], v[68:69]
	v_fma_f64 v[52:53], v[52:53], s[2:3], v[68:69]
	v_add_f64 v[68:69], v[88:89], v[72:73]
	v_add_f64 v[68:69], v[68:69], v[22:23]
	v_mul_hi_u32 v22, v108, s7
	v_lshrrev_b32_e32 v22, 5, v22
	v_mul_lo_u32 v22, v22, s6
	v_sub_u32_e32 v72, v108, v22
	v_lshlrev_b64 v[22:23], 4, v[90:91]
	v_lshlrev_b32_e32 v72, 4, v72
	v_add_co_u32_e64 v73, s[0:1], s14, v22
	v_mov_b32_e32 v22, s15
	v_addc_co_u32_e64 v74, s[0:1], v22, v23, s[0:1]
	v_lshlrev_b64 v[22:23], 4, v[80:81]
	v_add_co_u32_e64 v22, s[0:1], v73, v22
	v_addc_co_u32_e64 v23, s[0:1], v74, v23, s[0:1]
	v_add_co_u32_e64 v72, s[0:1], v22, v72
	v_addc_co_u32_e64 v73, s[0:1], 0, v23, s[0:1]
	s_movk_i32 s0, 0x1000
	global_store_dwordx4 v[72:73], v[68:71], off
	global_store_dwordx4 v[72:73], v[52:55], off offset:2304
	s_nop 0
	v_add_co_u32_e64 v52, s[0:1], s0, v72
	v_addc_co_u32_e64 v53, s[0:1], 0, v73, s[0:1]
	global_store_dwordx4 v[52:53], v[36:39], off offset:512
	s_nop 0
	v_add_u32_e32 v36, 27, v108
	v_mul_hi_u32 v37, v36, s7
	v_lshrrev_b32_e32 v37, 5, v37
	v_mul_lo_u32 v38, v37, s6
	v_sub_u32_e32 v36, v36, v38
	v_mad_u64_u32 v[36:37], s[0:1], v37, s10, v[36:37]
	v_mov_b32_e32 v37, v83
	v_lshlrev_b64 v[37:38], 4, v[36:37]
	v_add_u32_e32 v82, 0x90, v36
	v_add_co_u32_e64 v37, s[0:1], v22, v37
	v_addc_co_u32_e64 v38, s[0:1], v23, v38, s[0:1]
	global_store_dwordx4 v[37:38], v[64:67], off
	v_lshlrev_b64 v[37:38], 4, v[82:83]
	v_add_u32_e32 v82, 0x120, v36
	v_add_co_u32_e64 v37, s[0:1], v22, v37
	v_addc_co_u32_e64 v38, s[0:1], v23, v38, s[0:1]
	global_store_dwordx4 v[37:38], v[60:63], off
	v_lshlrev_b64 v[36:37], 4, v[82:83]
	v_add_co_u32_e64 v36, s[0:1], v22, v36
	v_addc_co_u32_e64 v37, s[0:1], v23, v37, s[0:1]
	global_store_dwordx4 v[36:37], v[56:59], off
	v_add_u32_e32 v36, 54, v108
	v_mul_hi_u32 v37, v36, s7
	v_lshrrev_b32_e32 v37, 5, v37
	v_mul_lo_u32 v38, v37, s6
	v_sub_u32_e32 v36, v36, v38
	v_mad_u64_u32 v[36:37], s[0:1], v37, s10, v[36:37]
	v_mov_b32_e32 v37, v83
	v_lshlrev_b64 v[37:38], 4, v[36:37]
	v_add_u32_e32 v82, 0x90, v36
	v_add_co_u32_e64 v37, s[0:1], v22, v37
	v_addc_co_u32_e64 v38, s[0:1], v23, v38, s[0:1]
	global_store_dwordx4 v[37:38], v[48:51], off
	v_lshlrev_b64 v[37:38], 4, v[82:83]
	v_add_u32_e32 v82, 0x120, v36
	v_add_co_u32_e64 v37, s[0:1], v22, v37
	v_addc_co_u32_e64 v38, s[0:1], v23, v38, s[0:1]
	global_store_dwordx4 v[37:38], v[44:47], off
	v_lshlrev_b64 v[36:37], 4, v[82:83]
	v_add_co_u32_e64 v36, s[0:1], v22, v36
	v_addc_co_u32_e64 v37, s[0:1], v23, v37, s[0:1]
	global_store_dwordx4 v[36:37], v[40:43], off
	v_add_u32_e32 v36, 0x51, v108
	v_mul_hi_u32 v37, v36, s7
	v_lshrrev_b32_e32 v37, 5, v37
	v_mul_lo_u32 v38, v37, s6
	v_sub_u32_e32 v36, v36, v38
	v_mad_u64_u32 v[36:37], s[0:1], v37, s10, v[36:37]
	v_mov_b32_e32 v37, v83
	v_lshlrev_b64 v[37:38], 4, v[36:37]
	v_add_u32_e32 v82, 0x90, v36
	v_add_co_u32_e64 v37, s[0:1], v22, v37
	v_addc_co_u32_e64 v38, s[0:1], v23, v38, s[0:1]
	global_store_dwordx4 v[37:38], v[32:35], off
	s_nop 0
	v_lshlrev_b64 v[32:33], 4, v[82:83]
	v_add_u32_e32 v82, 0x120, v36
	v_add_co_u32_e64 v32, s[0:1], v22, v32
	v_addc_co_u32_e64 v33, s[0:1], v23, v33, s[0:1]
	global_store_dwordx4 v[32:33], v[28:31], off
	s_nop 0
	v_lshlrev_b64 v[28:29], 4, v[82:83]
	v_add_co_u32_e64 v28, s[0:1], v22, v28
	v_addc_co_u32_e64 v29, s[0:1], v23, v29, s[0:1]
	global_store_dwordx4 v[28:29], v[24:27], off
	s_nop 0
	v_add_u32_e32 v24, 0x6c, v108
	v_mul_hi_u32 v25, v24, s7
	v_lshrrev_b32_e32 v25, 5, v25
	v_mul_lo_u32 v26, v25, s6
	v_sub_u32_e32 v24, v24, v26
	v_mad_u64_u32 v[24:25], s[0:1], v25, s10, v[24:25]
	v_mov_b32_e32 v25, v83
	v_lshlrev_b64 v[25:26], 4, v[24:25]
	v_add_u32_e32 v82, 0x90, v24
	v_add_co_u32_e64 v25, s[0:1], v22, v25
	v_addc_co_u32_e64 v26, s[0:1], v23, v26, s[0:1]
	global_store_dwordx4 v[25:26], v[18:21], off
	s_nop 0
	v_lshlrev_b64 v[18:19], 4, v[82:83]
	v_add_u32_e32 v82, 0x120, v24
	v_add_co_u32_e64 v18, s[0:1], v22, v18
	v_addc_co_u32_e64 v19, s[0:1], v23, v19, s[0:1]
	global_store_dwordx4 v[18:19], v[14:17], off
	s_nop 0
	v_lshlrev_b64 v[14:15], 4, v[82:83]
	v_add_co_u32_e64 v14, s[0:1], v22, v14
	v_addc_co_u32_e64 v15, s[0:1], v23, v15, s[0:1]
	global_store_dwordx4 v[14:15], v[10:13], off
	s_nop 0
	v_add_u32_e32 v10, 0x87, v108
	v_cmp_gt_u32_e64 s[0:1], s6, v10
	s_and_b64 exec, exec, s[0:1]
	s_cbranch_execz .LBB0_34
; %bb.33:
	v_add_u32_e32 v11, -9, v108
	v_cndmask_b32_e32 v11, v11, v109, vcc
	v_lshlrev_b32_e32 v82, 1, v11
	v_lshlrev_b64 v[11:12], 4, v[82:83]
	v_mov_b32_e32 v13, s9
	v_add_co_u32_e32 v19, vcc, s8, v11
	v_addc_co_u32_e32 v20, vcc, v13, v12, vcc
	global_load_dwordx4 v[11:14], v[19:20], off offset:2256
	global_load_dwordx4 v[15:18], v[19:20], off offset:2272
	v_add_u32_e32 v82, 0x117, v108
	v_lshlrev_b64 v[26:27], 4, v[82:83]
	v_add_u32_e32 v82, 0x1a7, v108
	v_lshlrev_b64 v[28:29], 4, v[82:83]
	s_waitcnt vmcnt(1)
	v_mul_f64 v[19:20], v[8:9], v[13:14]
	v_mul_f64 v[13:14], v[4:5], v[13:14]
	s_waitcnt vmcnt(0)
	v_mul_f64 v[24:25], v[0:1], v[17:18]
	v_mul_f64 v[17:18], v[84:85], v[17:18]
	v_fma_f64 v[4:5], v[4:5], v[11:12], v[19:20]
	v_fma_f64 v[8:9], v[8:9], v[11:12], -v[13:14]
	v_fma_f64 v[12:13], v[84:85], v[15:16], v[24:25]
	v_fma_f64 v[14:15], v[0:1], v[15:16], -v[17:18]
	v_mov_b32_e32 v11, v83
	v_lshlrev_b64 v[0:1], 4, v[10:11]
	v_add_co_u32_e32 v18, vcc, v22, v0
	v_addc_co_u32_e32 v19, vcc, v23, v1, vcc
	v_add_f64 v[10:11], v[4:5], v[12:13]
	v_add_f64 v[16:17], v[8:9], v[14:15]
	;; [unrolled: 1-line block ×3, first 2 shown]
	v_add_f64 v[20:21], v[8:9], -v[14:15]
	v_add_f64 v[8:9], v[6:7], v[8:9]
	v_add_f64 v[24:25], v[4:5], -v[12:13]
	v_fma_f64 v[10:11], v[10:11], -0.5, v[2:3]
	v_fma_f64 v[16:17], v[16:17], -0.5, v[6:7]
	v_add_f64 v[0:1], v[0:1], v[12:13]
	v_add_co_u32_e32 v12, vcc, v22, v26
	v_add_f64 v[2:3], v[8:9], v[14:15]
	v_addc_co_u32_e32 v13, vcc, v23, v27, vcc
	v_fma_f64 v[4:5], v[20:21], s[2:3], v[10:11]
	v_fma_f64 v[6:7], v[24:25], s[4:5], v[16:17]
	;; [unrolled: 1-line block ×4, first 2 shown]
	v_add_co_u32_e32 v14, vcc, v22, v28
	v_addc_co_u32_e32 v15, vcc, v23, v29, vcc
	global_store_dwordx4 v[18:19], v[0:3], off
	global_store_dwordx4 v[12:13], v[4:7], off
	;; [unrolled: 1-line block ×3, first 2 shown]
.LBB0_34:
	s_endpgm
	.section	.rodata,"a",@progbits
	.p2align	6, 0x0
	.amdhsa_kernel fft_rtc_back_len432_factors_3_16_3_3_wgs_54_tpt_27_halfLds_dp_op_CI_CI_unitstride_sbrr_dirReg
		.amdhsa_group_segment_fixed_size 0
		.amdhsa_private_segment_fixed_size 0
		.amdhsa_kernarg_size 104
		.amdhsa_user_sgpr_count 6
		.amdhsa_user_sgpr_private_segment_buffer 1
		.amdhsa_user_sgpr_dispatch_ptr 0
		.amdhsa_user_sgpr_queue_ptr 0
		.amdhsa_user_sgpr_kernarg_segment_ptr 1
		.amdhsa_user_sgpr_dispatch_id 0
		.amdhsa_user_sgpr_flat_scratch_init 0
		.amdhsa_user_sgpr_private_segment_size 0
		.amdhsa_uses_dynamic_stack 0
		.amdhsa_system_sgpr_private_segment_wavefront_offset 0
		.amdhsa_system_sgpr_workgroup_id_x 1
		.amdhsa_system_sgpr_workgroup_id_y 0
		.amdhsa_system_sgpr_workgroup_id_z 0
		.amdhsa_system_sgpr_workgroup_info 0
		.amdhsa_system_vgpr_workitem_id 0
		.amdhsa_next_free_vgpr 121
		.amdhsa_next_free_sgpr 28
		.amdhsa_reserve_vcc 1
		.amdhsa_reserve_flat_scratch 0
		.amdhsa_float_round_mode_32 0
		.amdhsa_float_round_mode_16_64 0
		.amdhsa_float_denorm_mode_32 3
		.amdhsa_float_denorm_mode_16_64 3
		.amdhsa_dx10_clamp 1
		.amdhsa_ieee_mode 1
		.amdhsa_fp16_overflow 0
		.amdhsa_exception_fp_ieee_invalid_op 0
		.amdhsa_exception_fp_denorm_src 0
		.amdhsa_exception_fp_ieee_div_zero 0
		.amdhsa_exception_fp_ieee_overflow 0
		.amdhsa_exception_fp_ieee_underflow 0
		.amdhsa_exception_fp_ieee_inexact 0
		.amdhsa_exception_int_div_zero 0
	.end_amdhsa_kernel
	.text
.Lfunc_end0:
	.size	fft_rtc_back_len432_factors_3_16_3_3_wgs_54_tpt_27_halfLds_dp_op_CI_CI_unitstride_sbrr_dirReg, .Lfunc_end0-fft_rtc_back_len432_factors_3_16_3_3_wgs_54_tpt_27_halfLds_dp_op_CI_CI_unitstride_sbrr_dirReg
                                        ; -- End function
	.section	.AMDGPU.csdata,"",@progbits
; Kernel info:
; codeLenInByte = 9572
; NumSgprs: 32
; NumVgprs: 121
; ScratchSize: 0
; MemoryBound: 1
; FloatMode: 240
; IeeeMode: 1
; LDSByteSize: 0 bytes/workgroup (compile time only)
; SGPRBlocks: 3
; VGPRBlocks: 30
; NumSGPRsForWavesPerEU: 32
; NumVGPRsForWavesPerEU: 121
; Occupancy: 2
; WaveLimiterHint : 1
; COMPUTE_PGM_RSRC2:SCRATCH_EN: 0
; COMPUTE_PGM_RSRC2:USER_SGPR: 6
; COMPUTE_PGM_RSRC2:TRAP_HANDLER: 0
; COMPUTE_PGM_RSRC2:TGID_X_EN: 1
; COMPUTE_PGM_RSRC2:TGID_Y_EN: 0
; COMPUTE_PGM_RSRC2:TGID_Z_EN: 0
; COMPUTE_PGM_RSRC2:TIDIG_COMP_CNT: 0
	.type	__hip_cuid_b5f5535014cb1f8f,@object ; @__hip_cuid_b5f5535014cb1f8f
	.section	.bss,"aw",@nobits
	.globl	__hip_cuid_b5f5535014cb1f8f
__hip_cuid_b5f5535014cb1f8f:
	.byte	0                               ; 0x0
	.size	__hip_cuid_b5f5535014cb1f8f, 1

	.ident	"AMD clang version 19.0.0git (https://github.com/RadeonOpenCompute/llvm-project roc-6.4.0 25133 c7fe45cf4b819c5991fe208aaa96edf142730f1d)"
	.section	".note.GNU-stack","",@progbits
	.addrsig
	.addrsig_sym __hip_cuid_b5f5535014cb1f8f
	.amdgpu_metadata
---
amdhsa.kernels:
  - .args:
      - .actual_access:  read_only
        .address_space:  global
        .offset:         0
        .size:           8
        .value_kind:     global_buffer
      - .offset:         8
        .size:           8
        .value_kind:     by_value
      - .actual_access:  read_only
        .address_space:  global
        .offset:         16
        .size:           8
        .value_kind:     global_buffer
      - .actual_access:  read_only
        .address_space:  global
        .offset:         24
        .size:           8
        .value_kind:     global_buffer
      - .actual_access:  read_only
        .address_space:  global
        .offset:         32
        .size:           8
        .value_kind:     global_buffer
      - .offset:         40
        .size:           8
        .value_kind:     by_value
      - .actual_access:  read_only
        .address_space:  global
        .offset:         48
        .size:           8
        .value_kind:     global_buffer
      - .actual_access:  read_only
        .address_space:  global
        .offset:         56
        .size:           8
        .value_kind:     global_buffer
      - .offset:         64
        .size:           4
        .value_kind:     by_value
      - .actual_access:  read_only
        .address_space:  global
        .offset:         72
        .size:           8
        .value_kind:     global_buffer
      - .actual_access:  read_only
        .address_space:  global
        .offset:         80
        .size:           8
        .value_kind:     global_buffer
      - .actual_access:  read_only
        .address_space:  global
        .offset:         88
        .size:           8
        .value_kind:     global_buffer
      - .actual_access:  write_only
        .address_space:  global
        .offset:         96
        .size:           8
        .value_kind:     global_buffer
    .group_segment_fixed_size: 0
    .kernarg_segment_align: 8
    .kernarg_segment_size: 104
    .language:       OpenCL C
    .language_version:
      - 2
      - 0
    .max_flat_workgroup_size: 54
    .name:           fft_rtc_back_len432_factors_3_16_3_3_wgs_54_tpt_27_halfLds_dp_op_CI_CI_unitstride_sbrr_dirReg
    .private_segment_fixed_size: 0
    .sgpr_count:     32
    .sgpr_spill_count: 0
    .symbol:         fft_rtc_back_len432_factors_3_16_3_3_wgs_54_tpt_27_halfLds_dp_op_CI_CI_unitstride_sbrr_dirReg.kd
    .uniform_work_group_size: 1
    .uses_dynamic_stack: false
    .vgpr_count:     121
    .vgpr_spill_count: 0
    .wavefront_size: 64
amdhsa.target:   amdgcn-amd-amdhsa--gfx906
amdhsa.version:
  - 1
  - 2
...

	.end_amdgpu_metadata
